;; amdgpu-corpus repo=ROCm/rocFFT kind=compiled arch=gfx950 opt=O3
	.text
	.amdgcn_target "amdgcn-amd-amdhsa--gfx950"
	.amdhsa_code_object_version 6
	.protected	fft_rtc_back_len224_factors_7_2_4_4_wgs_252_tpt_28_dim2_dp_ip_CI_sbcc_twdbase8_2step_dirReg ; -- Begin function fft_rtc_back_len224_factors_7_2_4_4_wgs_252_tpt_28_dim2_dp_ip_CI_sbcc_twdbase8_2step_dirReg
	.globl	fft_rtc_back_len224_factors_7_2_4_4_wgs_252_tpt_28_dim2_dp_ip_CI_sbcc_twdbase8_2step_dirReg
	.p2align	8
	.type	fft_rtc_back_len224_factors_7_2_4_4_wgs_252_tpt_28_dim2_dp_ip_CI_sbcc_twdbase8_2step_dirReg,@function
fft_rtc_back_len224_factors_7_2_4_4_wgs_252_tpt_28_dim2_dp_ip_CI_sbcc_twdbase8_2step_dirReg: ; @fft_rtc_back_len224_factors_7_2_4_4_wgs_252_tpt_28_dim2_dp_ip_CI_sbcc_twdbase8_2step_dirReg
; %bb.0:
	s_load_dwordx4 s[4:7], s[0:1], 0x10
	s_mov_b32 s3, 0
	s_mov_b64 s[18:19], -1
	s_waitcnt lgkmcnt(0)
	s_load_dwordx2 s[16:17], s[4:5], 0x8
	s_load_dwordx2 s[14:15], s[0:1], 0x50
	;; [unrolled: 1-line block ×3, first 2 shown]
	s_waitcnt lgkmcnt(0)
	s_add_u32 s4, s16, -1
	s_addc_u32 s5, s17, -1
	s_add_u32 s8, 0, 0x71c4fc00
	s_addc_u32 s9, 0, 0x7c
	s_add_i32 s9, s9, 0x1c71c6a0
	s_mul_hi_u32 s21, s8, -9
	s_sub_i32 s21, s21, s8
	s_mul_i32 s22, s9, -9
	s_mul_i32 s10, s8, -9
	s_add_i32 s21, s21, s22
	s_mul_hi_u32 s11, s9, s10
	s_mul_i32 s20, s9, s10
	s_mul_i32 s23, s8, s21
	s_mul_hi_u32 s10, s8, s10
	s_mul_hi_u32 s22, s8, s21
	s_add_u32 s10, s10, s23
	s_addc_u32 s22, 0, s22
	s_add_u32 s10, s10, s20
	s_mul_hi_u32 s23, s9, s21
	s_addc_u32 s10, s22, s11
	s_addc_u32 s11, s23, 0
	s_mul_i32 s20, s9, s21
	s_add_u32 s10, s10, s20
	v_mov_b32_e32 v1, s10
	s_addc_u32 s11, 0, s11
	v_add_co_u32_e32 v1, vcc, s8, v1
	s_cmp_lg_u64 vcc, 0
	s_addc_u32 s8, s9, s11
	v_readfirstlane_b32 s11, v1
	s_mul_i32 s10, s4, s8
	s_mul_hi_u32 s20, s4, s11
	s_mul_hi_u32 s9, s4, s8
	s_add_u32 s10, s20, s10
	s_addc_u32 s9, 0, s9
	s_mul_hi_u32 s21, s5, s11
	s_mul_i32 s11, s5, s11
	s_add_u32 s10, s10, s11
	s_mul_hi_u32 s20, s5, s8
	s_addc_u32 s9, s9, s21
	s_addc_u32 s10, s20, 0
	s_mul_i32 s8, s5, s8
	s_add_u32 s8, s9, s8
	s_addc_u32 s9, 0, s10
	s_add_u32 s10, s8, 1
	s_addc_u32 s11, s9, 0
	s_add_u32 s20, s8, 2
	s_mul_i32 s22, s9, 9
	s_mul_hi_u32 s23, s8, 9
	s_addc_u32 s21, s9, 0
	s_add_i32 s23, s23, s22
	s_mul_i32 s22, s8, 9
	v_mov_b32_e32 v1, s22
	v_sub_co_u32_e32 v1, vcc, s4, v1
	s_cmp_lg_u64 vcc, 0
	s_subb_u32 s4, s5, s23
	v_subrev_co_u32_e32 v2, vcc, 9, v1
	s_cmp_lg_u64 vcc, 0
	s_subb_u32 s5, s4, 0
	v_readfirstlane_b32 s22, v2
	s_cmp_gt_u32 s22, 8
	s_cselect_b32 s22, -1, 0
	s_cmp_eq_u32 s5, 0
	s_cselect_b32 s5, s22, -1
	s_cmp_lg_u32 s5, 0
	s_cselect_b32 s5, s20, s10
	s_cselect_b32 s10, s21, s11
	v_readfirstlane_b32 s11, v1
	s_cmp_gt_u32 s11, 8
	s_cselect_b32 s11, -1, 0
	s_cmp_eq_u32 s4, 0
	s_cselect_b32 s4, s11, -1
	s_cmp_lg_u32 s4, 0
	s_cselect_b32 s4, s5, s8
	s_cselect_b32 s9, s10, s9
	s_add_u32 s4, s4, 1
	s_addc_u32 s5, s9, 0
	v_mov_b64_e32 v[2:3], s[4:5]
	v_cmp_lt_u64_e32 vcc, s[2:3], v[2:3]
	s_mov_b64 s[20:21], 0
	s_mov_b64 s[22:23], 0
	s_cbranch_vccnz .LBB0_2
; %bb.1:
	v_cvt_f32_u32_e32 v1, s4
	s_sub_i32 s3, 0, s4
	v_rcp_iflag_f32_e32 v1, v1
	s_nop 0
	v_mul_f32_e32 v1, 0x4f7ffffe, v1
	v_cvt_u32_f32_e32 v1, v1
	s_nop 0
	v_readfirstlane_b32 s8, v1
	s_mul_i32 s3, s3, s8
	s_mul_hi_u32 s3, s8, s3
	s_add_i32 s8, s8, s3
	s_mul_hi_u32 s3, s2, s8
	s_mul_i32 s9, s3, s4
	s_sub_i32 s9, s2, s9
	s_add_i32 s8, s3, 1
	s_sub_i32 s10, s9, s4
	s_cmp_ge_u32 s9, s4
	s_cselect_b32 s3, s8, s3
	s_cselect_b32 s9, s10, s9
	s_add_i32 s8, s3, 1
	s_cmp_ge_u32 s9, s4
	s_cselect_b32 s22, s8, s3
.LBB0_2:
	s_mul_i32 s3, s22, s5
	s_mul_hi_u32 s5, s22, s4
	s_load_dwordx4 s[8:11], s[6:7], 0x8
	s_add_i32 s5, s5, s3
	s_mul_i32 s3, s22, s4
	s_sub_u32 s2, s2, s3
	s_subb_u32 s3, 0, s5
	s_mul_i32 s4, s3, 9
	s_mul_hi_u32 s3, s2, 9
	s_mul_i32 s23, s2, 9
	s_add_i32 s5, s3, s4
	s_waitcnt lgkmcnt(0)
	s_mul_i32 s6, s23, s9
	s_mul_hi_u32 s7, s23, s8
	v_mul_u32_u24_e32 v1, 0x1c72, v0
	s_mul_i32 s3, s5, s8
	s_add_i32 s6, s7, s6
	s_mul_i32 s7, s11, s22
	s_mul_hi_u32 s11, s10, s22
	v_lshrrev_b32_e32 v62, 16, v1
	s_add_i32 s3, s6, s3
	s_mul_i32 s6, s23, s8
	s_add_i32 s11, s11, s7
	s_mul_i32 s7, s10, s22
	v_mul_lo_u16_e32 v1, 9, v62
	s_add_u32 s6, s7, s6
	v_sub_u16_e32 v58, v0, v1
	v_mov_b32_e32 v59, 0
	s_addc_u32 s7, s11, s3
	v_mad_u64_u32 v[60:61], s[2:3], s2, 9, v[58:59]
	v_add_u32_e32 v61, s4, v61
	s_add_u32 s4, s23, 9
	s_addc_u32 s5, s5, 0
	v_mov_b64_e32 v[2:3], s[16:17]
	v_cmp_gt_u64_e32 vcc, s[4:5], v[2:3]
	v_cmp_le_u64_e64 s[2:3], s[4:5], v[2:3]
	v_cmp_gt_u64_e64 s[4:5], s[16:17], v[60:61]
	s_cbranch_vccz .LBB0_6
; %bb.3:
	s_mov_b64 s[18:19], 0
                                        ; implicit-def: $vgpr54_vgpr55
                                        ; implicit-def: $vgpr2_vgpr3
                                        ; implicit-def: $vgpr10_vgpr11
                                        ; implicit-def: $vgpr18_vgpr19
                                        ; implicit-def: $vgpr42_vgpr43
                                        ; implicit-def: $vgpr22_vgpr23
                                        ; implicit-def: $vgpr14_vgpr15
                                        ; implicit-def: $vgpr6_vgpr7
	s_and_saveexec_b64 s[10:11], s[4:5]
	s_xor_b64 s[4:5], exec, s[10:11]
	s_cbranch_execz .LBB0_5
; %bb.4:
	v_mad_u64_u32 v[2:3], s[10:11], s8, v58, 0
	v_mov_b32_e32 v4, v3
	v_mad_u64_u32 v[4:5], s[10:11], s9, v58, v[4:5]
	v_mov_b32_e32 v3, v4
	;; [unrolled: 2-line block ×3, first 2 shown]
	v_mad_u64_u32 v[6:7], s[10:11], s13, v62, v[6:7]
	s_lshl_b64 s[10:11], s[6:7], 4
	s_add_u32 s10, s14, s10
	s_addc_u32 s11, s15, s11
	v_or_b32_e32 v1, 32, v62
	v_mov_b32_e32 v5, v6
	v_lshl_add_u64 v[54:55], v[2:3], 4, s[10:11]
	v_mad_u64_u32 v[2:3], s[10:11], s12, v1, 0
	v_lshl_add_u64 v[10:11], v[4:5], 4, v[54:55]
	v_mov_b32_e32 v4, v3
	v_mad_u64_u32 v[4:5], s[10:11], s13, v1, v[4:5]
	v_mov_b32_e32 v3, v4
	v_or_b32_e32 v1, 64, v62
	v_lshl_add_u64 v[12:13], v[2:3], 4, v[54:55]
	global_load_dwordx4 v[2:5], v[10:11], off
	global_load_dwordx4 v[6:9], v[12:13], off
	v_mad_u64_u32 v[10:11], s[10:11], s12, v1, 0
	v_mov_b32_e32 v12, v11
	v_mad_u64_u32 v[12:13], s[10:11], s13, v1, v[12:13]
	v_mov_b32_e32 v11, v12
	v_or_b32_e32 v1, 0x60, v62
	v_lshl_add_u64 v[18:19], v[10:11], 4, v[54:55]
	v_mad_u64_u32 v[10:11], s[10:11], s12, v1, 0
	v_mov_b32_e32 v12, v11
	v_mad_u64_u32 v[12:13], s[10:11], s13, v1, v[12:13]
	v_mov_b32_e32 v11, v12
	v_or_b32_e32 v1, 0x80, v62
	v_lshl_add_u64 v[20:21], v[10:11], 4, v[54:55]
	global_load_dwordx4 v[14:17], v[18:19], off
	global_load_dwordx4 v[10:13], v[20:21], off
	v_mad_u64_u32 v[18:19], s[10:11], s12, v1, 0
	v_mov_b32_e32 v20, v19
	v_mad_u64_u32 v[20:21], s[10:11], s13, v1, v[20:21]
	v_mov_b32_e32 v19, v20
	v_or_b32_e32 v1, 0xa0, v62
	v_lshl_add_u64 v[26:27], v[18:19], 4, v[54:55]
	v_mad_u64_u32 v[18:19], s[10:11], s12, v1, 0
	v_mov_b32_e32 v20, v19
	v_mad_u64_u32 v[20:21], s[10:11], s13, v1, v[20:21]
	v_mov_b32_e32 v19, v20
	v_or_b32_e32 v1, 0xc0, v62
	v_lshl_add_u64 v[28:29], v[18:19], 4, v[54:55]
	global_load_dwordx4 v[18:21], v[26:27], off
	global_load_dwordx4 v[22:25], v[28:29], off
	v_mad_u64_u32 v[26:27], s[10:11], s12, v1, 0
	v_mov_b32_e32 v28, v27
	v_mad_u64_u32 v[28:29], s[10:11], s13, v1, v[28:29]
	v_mov_b32_e32 v27, v28
	v_lshl_add_u64 v[26:27], v[26:27], 4, v[54:55]
	global_load_dwordx4 v[42:45], v[26:27], off
	v_cmp_gt_u32_e32 vcc, 36, v0
	s_and_b64 s[20:21], vcc, exec
.LBB0_5:
	s_or_b64 exec, exec, s[4:5]
	s_and_b64 vcc, exec, s[18:19]
	v_cmp_gt_u32_e64 s[4:5], 36, v0
	s_cbranch_vccnz .LBB0_7
	s_branch .LBB0_8
.LBB0_6:
                                        ; implicit-def: $vgpr54_vgpr55
                                        ; implicit-def: $vgpr2_vgpr3
                                        ; implicit-def: $vgpr10_vgpr11
                                        ; implicit-def: $vgpr18_vgpr19
                                        ; implicit-def: $vgpr42_vgpr43
                                        ; implicit-def: $vgpr22_vgpr23
                                        ; implicit-def: $vgpr14_vgpr15
                                        ; implicit-def: $vgpr6_vgpr7
	s_and_b64 vcc, exec, s[18:19]
	v_cmp_gt_u32_e64 s[4:5], 36, v0
	s_cbranch_vccz .LBB0_8
.LBB0_7:
	s_waitcnt vmcnt(6)
	v_mad_u64_u32 v[2:3], s[10:11], s8, v58, 0
	v_mov_b32_e32 v4, v3
	v_mad_u64_u32 v[4:5], s[10:11], s9, v58, v[4:5]
	v_mov_b32_e32 v3, v4
	v_mad_u64_u32 v[4:5], s[10:11], s12, v62, 0
	s_waitcnt vmcnt(5)
	v_mov_b32_e32 v6, v5
	v_mad_u64_u32 v[6:7], s[10:11], s13, v62, v[6:7]
	s_lshl_b64 s[10:11], s[6:7], 4
	s_add_u32 s10, s14, s10
	s_addc_u32 s11, s15, s11
	v_or_b32_e32 v1, 32, v62
	v_mov_b32_e32 v5, v6
	v_lshl_add_u64 v[54:55], v[2:3], 4, s[10:11]
	v_mad_u64_u32 v[2:3], s[10:11], s12, v1, 0
	s_waitcnt vmcnt(3)
	v_lshl_add_u64 v[10:11], v[4:5], 4, v[54:55]
	v_mov_b32_e32 v4, v3
	v_mad_u64_u32 v[4:5], s[10:11], s13, v1, v[4:5]
	v_mov_b32_e32 v3, v4
	v_or_b32_e32 v1, 64, v62
	v_lshl_add_u64 v[12:13], v[2:3], 4, v[54:55]
	global_load_dwordx4 v[2:5], v[10:11], off
	global_load_dwordx4 v[6:9], v[12:13], off
	v_mad_u64_u32 v[10:11], s[10:11], s12, v1, 0
	v_mov_b32_e32 v12, v11
	v_mad_u64_u32 v[12:13], s[10:11], s13, v1, v[12:13]
	v_mov_b32_e32 v11, v12
	v_or_b32_e32 v1, 0x60, v62
	s_waitcnt vmcnt(4)
	v_lshl_add_u64 v[18:19], v[10:11], 4, v[54:55]
	v_mad_u64_u32 v[10:11], s[10:11], s12, v1, 0
	v_mov_b32_e32 v12, v11
	v_mad_u64_u32 v[12:13], s[10:11], s13, v1, v[12:13]
	v_mov_b32_e32 v11, v12
	v_or_b32_e32 v1, 0x80, v62
	v_lshl_add_u64 v[20:21], v[10:11], 4, v[54:55]
	global_load_dwordx4 v[14:17], v[18:19], off
	global_load_dwordx4 v[10:13], v[20:21], off
	v_mad_u64_u32 v[18:19], s[10:11], s12, v1, 0
	v_mov_b32_e32 v20, v19
	v_mad_u64_u32 v[20:21], s[10:11], s13, v1, v[20:21]
	v_mov_b32_e32 v19, v20
	v_or_b32_e32 v1, 0xa0, v62
	v_lshl_add_u64 v[26:27], v[18:19], 4, v[54:55]
	v_mad_u64_u32 v[18:19], s[10:11], s12, v1, 0
	v_mov_b32_e32 v20, v19
	v_mad_u64_u32 v[20:21], s[10:11], s13, v1, v[20:21]
	v_mov_b32_e32 v19, v20
	v_or_b32_e32 v1, 0xc0, v62
	v_lshl_add_u64 v[28:29], v[18:19], 4, v[54:55]
	global_load_dwordx4 v[18:21], v[26:27], off
	global_load_dwordx4 v[22:25], v[28:29], off
	v_mad_u64_u32 v[26:27], s[10:11], s12, v1, 0
	v_mov_b32_e32 v28, v27
	v_mad_u64_u32 v[28:29], s[10:11], s13, v1, v[28:29]
	v_mov_b32_e32 v27, v28
	v_lshl_add_u64 v[26:27], v[26:27], 4, v[54:55]
	global_load_dwordx4 v[42:45], v[26:27], off
	s_andn2_b64 s[10:11], s[20:21], exec
	s_and_b64 s[4:5], s[4:5], exec
	s_or_b64 s[20:21], s[10:11], s[4:5]
.LBB0_8:
	s_load_dwordx2 s[4:5], s[0:1], 0x0
	v_add_u32_e32 v59, 28, v62
                                        ; implicit-def: $vgpr56_vgpr57
                                        ; implicit-def: $vgpr48_vgpr49
                                        ; implicit-def: $vgpr52_vgpr53
                                        ; implicit-def: $vgpr40_vgpr41
                                        ; implicit-def: $vgpr36_vgpr37
                                        ; implicit-def: $vgpr28_vgpr29
                                        ; implicit-def: $vgpr32_vgpr33
	s_and_saveexec_b64 s[10:11], s[20:21]
	s_cbranch_execz .LBB0_10
; %bb.9:
	v_mad_u64_u32 v[26:27], s[18:19], s12, v59, 0
	v_mov_b32_e32 v28, v27
	v_mad_u64_u32 v[28:29], s[18:19], s13, v59, v[28:29]
	v_mov_b32_e32 v27, v28
	v_add_u32_e32 v1, 60, v62
	v_lshl_add_u64 v[34:35], v[26:27], 4, v[54:55]
	v_mad_u64_u32 v[26:27], s[18:19], s12, v1, 0
	v_mov_b32_e32 v28, v27
	v_mad_u64_u32 v[28:29], s[18:19], s13, v1, v[28:29]
	v_mov_b32_e32 v27, v28
	v_add_u32_e32 v1, 0x5c, v62
	v_lshl_add_u64 v[36:37], v[26:27], 4, v[54:55]
	global_load_dwordx4 v[30:33], v[34:35], off
	global_load_dwordx4 v[26:29], v[36:37], off
	v_mad_u64_u32 v[34:35], s[18:19], s12, v1, 0
	v_mov_b32_e32 v36, v35
	v_mad_u64_u32 v[36:37], s[18:19], s13, v1, v[36:37]
	v_mov_b32_e32 v35, v36
	v_add_u32_e32 v1, 0x7c, v62
	v_lshl_add_u64 v[46:47], v[34:35], 4, v[54:55]
	v_mad_u64_u32 v[34:35], s[18:19], s12, v1, 0
	v_mov_b32_e32 v36, v35
	v_mad_u64_u32 v[36:37], s[18:19], s13, v1, v[36:37]
	v_mov_b32_e32 v35, v36
	v_add_u32_e32 v1, 0x9c, v62
	v_lshl_add_u64 v[48:49], v[34:35], 4, v[54:55]
	global_load_dwordx4 v[34:37], v[46:47], off
	global_load_dwordx4 v[38:41], v[48:49], off
	;; [unrolled: 14-line block ×3, first 2 shown]
	v_mad_u64_u32 v[56:57], s[18:19], s12, v1, 0
	v_mov_b32_e32 v64, v57
	v_mad_u64_u32 v[64:65], s[18:19], s13, v1, v[64:65]
	v_mov_b32_e32 v57, v64
	v_lshl_add_u64 v[54:55], v[56:57], 4, v[54:55]
	global_load_dwordx4 v[54:57], v[54:55], off
.LBB0_10:
	s_or_b64 exec, exec, s[10:11]
	s_waitcnt vmcnt(0)
	v_add_f64 v[64:65], v[6:7], v[42:43]
	v_add_f64 v[6:7], v[6:7], -v[42:43]
	v_add_f64 v[42:43], v[14:15], v[22:23]
	v_add_f64 v[66:67], v[8:9], v[44:45]
	v_add_f64 v[8:9], v[8:9], -v[44:45]
	v_add_f64 v[44:45], v[16:17], v[24:25]
	v_add_f64 v[14:15], v[14:15], -v[22:23]
	;; [unrolled: 2-line block ×5, first 2 shown]
	v_add_f64 v[20:21], v[44:45], v[66:67]
	v_add_f64 v[72:73], v[14:15], v[10:11]
	;; [unrolled: 1-line block ×3, first 2 shown]
	v_add_f64 v[68:69], v[42:43], -v[64:65]
	v_add_f64 v[64:65], v[64:65], -v[22:23]
	;; [unrolled: 1-line block ×3, first 2 shown]
	v_add_f64 v[74:75], v[16:17], v[12:13]
	v_add_f64 v[76:77], v[10:11], -v[14:15]
	v_add_f64 v[10:11], v[6:7], -v[10:11]
	;; [unrolled: 1-line block ×3, first 2 shown]
	v_add_f64 v[20:21], v[20:21], v[24:25]
	v_add_f64 v[22:23], v[6:7], v[72:73]
	;; [unrolled: 1-line block ×3, first 2 shown]
	s_mov_b32 s20, 0x37e14327
	s_mov_b32 s22, 0x36b3c0b5
	s_mov_b32 s24, 0xe976ee23
	s_mov_b32 s10, 0x429ad128
	s_mov_b32 s34, 0xaaaaaaaa
	v_add_f64 v[70:71], v[44:45], -v[66:67]
	v_add_f64 v[66:67], v[66:67], -v[24:25]
	;; [unrolled: 1-line block ×6, first 2 shown]
	v_add_f64 v[24:25], v[8:9], v[74:75]
	v_add_f64 v[8:9], v[4:5], v[20:21]
	s_mov_b32 s21, 0x3fe948f6
	s_mov_b32 s23, 0x3fac98ee
	;; [unrolled: 1-line block ×5, first 2 shown]
	v_mov_b64_e32 v[80:81], v[6:7]
	s_mov_b32 s18, 0x5476071b
	s_mov_b32 s36, 0xb247c609
	v_mul_f64 v[2:3], v[64:65], s[20:21]
	v_mul_f64 v[4:5], v[66:67], s[20:21]
	;; [unrolled: 1-line block ×8, first 2 shown]
	v_fmac_f64_e32 v[80:81], s[34:35], v[18:19]
	v_mov_b64_e32 v[18:19], v[8:9]
	s_mov_b32 s19, 0x3fe77f67
	s_mov_b32 s27, 0xbfe77f67
	;; [unrolled: 1-line block ×7, first 2 shown]
	v_fmac_f64_e32 v[18:19], s[34:35], v[20:21]
	v_fma_f64 v[20:21], v[68:69], s[18:19], -v[42:43]
	v_fmac_f64_e32 v[42:43], s[20:21], v[64:65]
	v_fma_f64 v[64:65], v[70:71], s[18:19], -v[44:45]
	v_fma_f64 v[2:3], v[68:69], s[26:27], -v[2:3]
	;; [unrolled: 1-line block ×6, first 2 shown]
	s_mov_b32 s29, 0xbfdc38aa
	s_movk_i32 s33, 0x3f0
	v_fmac_f64_e32 v[44:45], s[20:21], v[66:67]
	v_fma_f64 v[66:67], v[14:15], s[10:11], -v[72:73]
	v_fmac_f64_e32 v[72:73], s[36:37], v[10:11]
	v_fmac_f64_e32 v[74:75], s[36:37], v[12:13]
	v_add_f64 v[78:79], v[80:81], v[42:43]
	v_add_f64 v[42:43], v[80:81], v[20:21]
	;; [unrolled: 1-line block ×3, first 2 shown]
	v_fmac_f64_e32 v[68:69], s[28:29], v[24:25]
	v_fmac_f64_e32 v[76:77], s[28:29], v[24:25]
	v_mad_u32_u24 v1, v62, s33, 0
	v_add_f64 v[82:83], v[18:19], v[44:45]
	v_add_f64 v[44:45], v[18:19], v[64:65]
	;; [unrolled: 1-line block ×3, first 2 shown]
	v_fmac_f64_e32 v[72:73], s[28:29], v[22:23]
	v_fmac_f64_e32 v[74:75], s[28:29], v[24:25]
	;; [unrolled: 1-line block ×4, first 2 shown]
	v_add_f64 v[14:15], v[76:77], v[2:3]
	v_add_f64 v[18:19], v[42:43], -v[68:69]
	v_add_f64 v[22:23], v[68:69], v[42:43]
	v_add_f64 v[42:43], v[2:3], -v[76:77]
	v_lshl_add_u32 v2, v58, 4, v1
	v_cmp_gt_u32_e32 vcc, 36, v0
	v_add_f64 v[10:11], v[74:75], v[78:79]
	v_add_f64 v[12:13], v[82:83], -v[72:73]
	v_add_f64 v[16:17], v[4:5], -v[70:71]
	v_add_f64 v[20:21], v[44:45], v[66:67]
	v_add_f64 v[24:25], v[44:45], -v[66:67]
	v_add_f64 v[44:45], v[4:5], v[70:71]
	;; [unrolled: 2-line block ×3, first 2 shown]
	ds_write_b128 v2, v[6:9]
	ds_write_b128 v2, v[10:13] offset:144
	ds_write_b128 v2, v[14:17] offset:288
	;; [unrolled: 1-line block ×6, first 2 shown]
	s_and_saveexec_b64 s[38:39], vcc
	s_cbranch_execz .LBB0_12
; %bb.11:
	v_add_f64 v[12:13], v[26:27], -v[54:55]
	v_add_f64 v[4:5], v[50:51], -v[38:39]
	;; [unrolled: 1-line block ×5, first 2 shown]
	v_add_f64 v[4:5], v[4:5], v[16:17]
	v_add_f64 v[22:23], v[56:57], v[28:29]
	;; [unrolled: 1-line block ×7, first 2 shown]
	v_mul_f64 v[18:19], v[6:7], s[24:25]
	v_add_f64 v[6:7], v[32:33], v[4:5]
	v_mov_b64_e32 v[32:33], v[6:7]
	v_fmac_f64_e32 v[32:33], s[34:35], v[4:5]
	v_add_f64 v[4:5], v[22:23], -v[8:9]
	v_mul_f64 v[44:45], v[4:5], s[20:21]
	v_add_f64 v[4:5], v[8:9], -v[24:25]
	v_mul_f64 v[64:65], v[4:5], s[22:23]
	v_fma_f64 v[4:5], s[22:23], v[4:5], v[44:45]
	v_add_f64 v[26:27], v[54:55], v[26:27]
	v_add_f64 v[34:35], v[46:47], v[34:35]
	;; [unrolled: 1-line block ×7, first 2 shown]
	v_mov_b64_e32 v[30:31], v[4:5]
	v_fmac_f64_e32 v[30:31], s[34:35], v[38:39]
	v_add_f64 v[38:39], v[26:27], -v[8:9]
	v_mul_f64 v[38:39], v[38:39], s[20:21]
	v_add_f64 v[8:9], v[8:9], -v[34:35]
	v_mul_f64 v[46:47], v[8:9], s[22:23]
	v_fma_f64 v[8:9], s[22:23], v[8:9], v[38:39]
	v_add_f64 v[16:17], v[16:17], -v[12:13]
	v_add_f64 v[50:51], v[8:9], v[30:31]
	v_add_f64 v[28:29], v[28:29], -v[56:57]
	v_add_f64 v[8:9], v[52:53], -v[40:41]
	;; [unrolled: 1-line block ×3, first 2 shown]
	v_mul_f64 v[12:13], v[16:17], s[10:11]
	v_add_f64 v[22:23], v[24:25], -v[22:23]
	v_add_f64 v[40:41], v[28:29], -v[8:9]
	;; [unrolled: 1-line block ×3, first 2 shown]
	v_add_f64 v[8:9], v[8:9], v[36:37]
	v_fma_f64 v[56:57], v[14:15], s[30:31], -v[12:13]
	v_fma_f64 v[12:13], v[22:23], s[26:27], -v[44:45]
	v_add_f64 v[26:27], v[34:35], -v[26:27]
	v_add_f64 v[54:55], v[8:9], v[28:29]
	v_add_f64 v[24:25], v[12:13], v[32:33]
	v_fma_f64 v[12:13], v[26:27], s[26:27], -v[38:39]
	v_add_f64 v[28:29], v[36:37], -v[28:29]
	v_mul_f64 v[48:49], v[48:49], s[24:25]
	v_add_f64 v[34:35], v[12:13], v[30:31]
	v_mul_f64 v[12:13], v[28:29], s[10:11]
	v_fma_f64 v[22:23], v[22:23], s[18:19], -v[64:65]
	v_fma_f64 v[42:43], s[36:37], v[14:15], v[18:19]
	v_fma_f64 v[52:53], s[36:37], v[40:41], v[48:49]
	v_fma_f64 v[36:37], v[40:41], s[30:31], -v[12:13]
	v_add_f64 v[22:23], v[22:23], v[32:33]
	v_fma_f64 v[32:33], v[16:17], s[10:11], -v[18:19]
	v_fma_f64 v[16:17], v[26:27], s[18:19], -v[46:47]
	;; [unrolled: 1-line block ×3, first 2 shown]
	v_fmac_f64_e32 v[42:43], s[28:29], v[20:21]
	v_fmac_f64_e32 v[52:53], s[28:29], v[54:55]
	;; [unrolled: 1-line block ×5, first 2 shown]
	v_add_f64 v[20:21], v[16:17], v[30:31]
	v_fmac_f64_e32 v[26:27], s[28:29], v[54:55]
	v_add_f64 v[10:11], v[42:43], v[66:67]
	v_add_f64 v[8:9], v[50:51], -v[52:53]
	v_add_f64 v[14:15], v[56:57], v[24:25]
	v_add_f64 v[12:13], v[34:35], -v[36:37]
	v_add_f64 v[18:19], v[22:23], -v[32:33]
	v_add_f64 v[16:17], v[26:27], v[20:21]
	v_add_f64 v[22:23], v[32:33], v[22:23]
	v_add_f64 v[20:21], v[20:21], -v[26:27]
	v_add_f64 v[26:27], v[24:25], -v[56:57]
	v_add_f64 v[24:25], v[36:37], v[34:35]
	v_add_f64 v[30:31], v[66:67], -v[42:43]
	v_add_f64 v[28:29], v[52:53], v[50:51]
	ds_write_b128 v2, v[4:7] offset:28224
	ds_write_b128 v2, v[28:31] offset:28368
	ds_write_b128 v2, v[24:27] offset:28512
	ds_write_b128 v2, v[20:23] offset:28656
	ds_write_b128 v2, v[16:19] offset:28800
	ds_write_b128 v2, v[12:15] offset:28944
	ds_write_b128 v2, v[8:11] offset:29088
.LBB0_12:
	s_or_b64 exec, exec, s[38:39]
	v_mul_lo_u16_e32 v13, 37, v62
	v_lshrrev_b16_e32 v10, 8, v13
	v_mul_lo_u16_e32 v0, 7, v10
	v_sub_u16_e32 v0, v62, v0
	v_and_b32_e32 v11, 0xff, v0
	v_mul_lo_u16_e32 v0, 37, v59
	v_lshrrev_b16_e32 v54, 8, v0
	v_mul_lo_u16_e32 v2, 7, v54
	v_sub_u16_e32 v2, v59, v2
	v_lshlrev_b32_e32 v12, 4, v11
	v_and_b32_e32 v55, 0xff, v2
	s_waitcnt lgkmcnt(0)
	s_barrier
	v_lshlrev_b32_e32 v14, 4, v55
	global_load_dwordx4 v[2:5], v12, s[4:5]
	global_load_dwordx4 v[6:9], v14, s[4:5]
	s_movk_i32 s10, 0x93
	v_mov_b32_e32 v12, 0x2028
	v_mad_legacy_u16 v12, v62, s10, v12
	v_lshrrev_b16_e32 v56, 10, v12
	v_add_u16_e32 v12, 56, v62
	v_mul_lo_u16_e32 v14, 7, v56
	v_sub_u16_e32 v12, v12, v14
	v_mov_b32_e32 v14, 0x303c
	v_mad_legacy_u16 v14, v62, s10, v14
	v_lshrrev_b16_e32 v63, 10, v14
	v_and_b32_e32 v57, 0xff, v12
	v_mul_lo_u16_e32 v14, 7, v63
	v_lshlrev_b32_e32 v12, 4, v57
	v_sub_u16_e32 v18, v62, v14
	global_load_dwordx4 v[14:17], v12, s[4:5]
	v_add_u16_e32 v12, 0x54, v18
	v_and_b32_e32 v64, 0xff, v12
	v_lshlrev_b32_e32 v12, 4, v64
	global_load_dwordx4 v[18:21], v12, s[4:5]
	v_mul_i32_i24_e32 v12, 0xfffffca0, v62
	v_lshlrev_b32_e32 v70, 4, v58
	v_add3_u32 v12, v1, v12, v70
	ds_read_b128 v[22:25], v12
	ds_read_b128 v[26:29], v12 offset:4032
	ds_read_b128 v[30:33], v12 offset:16128
	;; [unrolled: 1-line block ×5, first 2 shown]
	v_add_u32_e32 v1, 0x2800, v12
	ds_read_b128 v[46:49], v12 offset:28224
	ds_read2_b64 v[50:53], v1 offset0:232 offset1:233
	v_mad_u32_u24 v1, v10, 14, v11
	v_mad_u32_u24 v10, v54, 14, v55
	v_mul_u32_u24_e32 v10, 0x90, v10
	v_add3_u32 v65, 0, v10, v70
	v_mul_u32_u24_e32 v1, 0x90, v1
	v_add3_u32 v1, 0, v1, v70
	s_waitcnt lgkmcnt(0)
	s_barrier
	v_cmp_gt_u64_e32 vcc, s[16:17], v[60:61]
	s_or_b64 s[2:3], s[2:3], vcc
	s_waitcnt vmcnt(3)
	v_mul_f64 v[10:11], v[32:33], v[4:5]
	v_mul_f64 v[4:5], v[30:31], v[4:5]
	s_waitcnt vmcnt(2)
	v_mul_f64 v[54:55], v[40:41], v[8:9]
	v_mul_f64 v[8:9], v[38:39], v[8:9]
	v_fmac_f64_e32 v[10:11], v[30:31], v[2:3]
	v_fma_f64 v[4:5], v[32:33], v[2:3], -v[4:5]
	v_fmac_f64_e32 v[54:55], v[38:39], v[6:7]
	v_fma_f64 v[8:9], v[40:41], v[6:7], -v[8:9]
	v_add_f64 v[4:5], v[24:25], -v[4:5]
	v_add_f64 v[6:7], v[26:27], -v[54:55]
	;; [unrolled: 1-line block ×3, first 2 shown]
	s_waitcnt vmcnt(1)
	v_mul_f64 v[30:31], v[44:45], v[16:17]
	v_mul_f64 v[2:3], v[42:43], v[16:17]
	v_fmac_f64_e32 v[30:31], v[42:43], v[14:15]
	v_fma_f64 v[32:33], v[44:45], v[14:15], -v[2:3]
	s_waitcnt vmcnt(0)
	v_mul_f64 v[14:15], v[46:47], v[20:21]
	v_add_f64 v[2:3], v[22:23], -v[10:11]
	v_mul_f64 v[38:39], v[48:49], v[20:21]
	v_fma_f64 v[10:11], v[48:49], v[18:19], -v[14:15]
	v_fma_f64 v[14:15], v[22:23], 2.0, -v[2:3]
	v_fma_f64 v[16:17], v[24:25], 2.0, -v[4:5]
	v_fmac_f64_e32 v[38:39], v[46:47], v[18:19]
	v_fma_f64 v[18:19], v[26:27], 2.0, -v[6:7]
	v_fma_f64 v[20:21], v[28:29], 2.0, -v[8:9]
	ds_write_b128 v1, v[2:5] offset:1008
	ds_write_b128 v1, v[14:17]
	ds_write_b128 v65, v[18:21]
	v_mad_u32_u24 v1, v56, 14, v57
	v_add_f64 v[22:23], v[34:35], -v[30:31]
	v_add_f64 v[24:25], v[36:37], -v[32:33]
	v_mul_u32_u24_e32 v1, 0x90, v1
	v_fma_f64 v[2:3], v[34:35], 2.0, -v[22:23]
	v_fma_f64 v[4:5], v[36:37], 2.0, -v[24:25]
	v_add3_u32 v1, 0, v1, v70
	ds_write_b128 v65, v[6:9] offset:1008
	ds_write_b128 v1, v[2:5]
	ds_write_b128 v1, v[22:25] offset:1008
	v_mad_u32_u24 v1, v63, 14, v64
	v_add_f64 v[26:27], v[50:51], -v[38:39]
	v_add_f64 v[28:29], v[52:53], -v[10:11]
	v_mul_u32_u24_e32 v1, 0x90, v1
	v_fma_f64 v[14:15], v[50:51], 2.0, -v[26:27]
	v_fma_f64 v[16:17], v[52:53], 2.0, -v[28:29]
	v_add3_u32 v1, 0, v1, v70
	ds_write_b128 v1, v[14:17]
	ds_write_b128 v1, v[26:29] offset:1008
	v_lshrrev_b16_e32 v1, 9, v13
	v_mul_lo_u16_e32 v2, 14, v1
	v_sub_u16_e32 v2, v62, v2
	v_and_b32_e32 v13, 0xff, v2
	v_lshrrev_b16_e32 v63, 9, v0
	v_mul_u32_u24_e32 v2, 3, v13
	v_mul_lo_u16_e32 v11, 14, v63
	v_lshlrev_b32_e32 v10, 4, v2
	v_sub_u16_e32 v11, v59, v11
	s_waitcnt lgkmcnt(0)
	s_barrier
	global_load_dwordx4 v[2:5], v10, s[4:5] offset:128
	global_load_dwordx4 v[6:9], v10, s[4:5] offset:112
	v_and_b32_e32 v71, 0xff, v11
	v_mul_u32_u24_e32 v11, 3, v71
	global_load_dwordx4 v[14:17], v10, s[4:5] offset:144
	v_lshlrev_b32_e32 v10, 4, v11
	global_load_dwordx4 v[18:21], v10, s[4:5] offset:112
	global_load_dwordx4 v[22:25], v10, s[4:5] offset:128
	;; [unrolled: 1-line block ×3, first 2 shown]
	ds_read_b128 v[30:33], v12
	ds_read_b128 v[34:37], v12 offset:4032
	ds_read_b128 v[38:41], v12 offset:8064
	;; [unrolled: 1-line block ×7, first 2 shown]
	v_mad_u32_u24 v1, v1, 56, v13
	v_mul_u32_u24_e32 v1, 0x90, v1
	v_add3_u32 v1, 0, v1, v70
	s_waitcnt lgkmcnt(0)
	s_barrier
	s_waitcnt vmcnt(5)
	v_mul_f64 v[68:69], v[48:49], v[4:5]
	s_waitcnt vmcnt(4)
	v_mul_f64 v[10:11], v[40:41], v[8:9]
	v_mul_f64 v[8:9], v[38:39], v[8:9]
	v_fmac_f64_e32 v[10:11], v[38:39], v[6:7]
	v_fma_f64 v[6:7], v[40:41], v[6:7], -v[8:9]
	v_mul_f64 v[4:5], v[46:47], v[4:5]
	s_waitcnt vmcnt(3)
	v_mul_f64 v[8:9], v[56:57], v[16:17]
	v_mul_f64 v[16:17], v[54:55], v[16:17]
	s_waitcnt vmcnt(2)
	v_mul_f64 v[38:39], v[44:45], v[20:21]
	v_fmac_f64_e32 v[68:69], v[46:47], v[2:3]
	v_fma_f64 v[2:3], v[48:49], v[2:3], -v[4:5]
	v_mul_f64 v[4:5], v[42:43], v[20:21]
	s_waitcnt vmcnt(1)
	v_mul_f64 v[20:21], v[52:53], v[24:25]
	v_mul_f64 v[24:25], v[50:51], v[24:25]
	v_fmac_f64_e32 v[8:9], v[54:55], v[14:15]
	v_fma_f64 v[14:15], v[56:57], v[14:15], -v[16:17]
	s_waitcnt vmcnt(0)
	v_mul_f64 v[40:41], v[66:67], v[28:29]
	v_mul_f64 v[16:17], v[64:65], v[28:29]
	v_fmac_f64_e32 v[38:39], v[42:43], v[18:19]
	v_fma_f64 v[28:29], v[44:45], v[18:19], -v[4:5]
	v_fmac_f64_e32 v[20:21], v[50:51], v[22:23]
	v_fma_f64 v[4:5], v[52:53], v[22:23], -v[24:25]
	v_add_f64 v[18:19], v[30:31], -v[68:69]
	v_add_f64 v[22:23], v[32:33], -v[2:3]
	;; [unrolled: 1-line block ×5, first 2 shown]
	v_fma_f64 v[20:21], v[30:31], 2.0, -v[18:19]
	v_fma_f64 v[24:25], v[32:33], 2.0, -v[22:23]
	;; [unrolled: 1-line block ×4, first 2 shown]
	v_fmac_f64_e32 v[40:41], v[64:65], v[26:27]
	v_fma_f64 v[16:17], v[66:67], v[26:27], -v[16:17]
	v_add_f64 v[44:45], v[36:37], -v[4:5]
	v_add_f64 v[2:3], v[18:19], v[2:3]
	v_add_f64 v[4:5], v[22:23], -v[8:9]
	v_add_f64 v[6:7], v[20:21], -v[10:11]
	;; [unrolled: 1-line block ×5, first 2 shown]
	v_fma_f64 v[14:15], v[18:19], 2.0, -v[2:3]
	v_fma_f64 v[18:19], v[20:21], 2.0, -v[6:7]
	;; [unrolled: 1-line block ×8, first 2 shown]
	ds_write_b128 v1, v[18:21]
	ds_write_b128 v1, v[14:17] offset:2016
	ds_write_b128 v1, v[6:9] offset:4032
	;; [unrolled: 1-line block ×3, first 2 shown]
	v_mad_u32_u24 v1, v63, 56, v71
	v_add_f64 v[22:23], v[26:27], -v[10:11]
	v_add_f64 v[24:25], v[30:31], -v[24:25]
	v_mul_u32_u24_e32 v1, 0x90, v1
	v_fma_f64 v[26:27], v[26:27], 2.0, -v[22:23]
	v_fma_f64 v[28:29], v[30:31], 2.0, -v[24:25]
	v_add_f64 v[30:31], v[42:43], v[46:47]
	v_add_f64 v[32:33], v[44:45], -v[40:41]
	v_add3_u32 v1, 0, v1, v70
	v_fma_f64 v[34:35], v[42:43], 2.0, -v[30:31]
	v_fma_f64 v[36:37], v[44:45], 2.0, -v[32:33]
	ds_write_b128 v1, v[26:29]
	ds_write_b128 v1, v[34:37] offset:2016
	ds_write_b128 v1, v[22:25] offset:4032
	;; [unrolled: 1-line block ×3, first 2 shown]
	s_waitcnt lgkmcnt(0)
	s_barrier
	s_and_saveexec_b64 s[10:11], s[2:3]
	s_cbranch_execz .LBB0_14
; %bb.13:
	v_lshrrev_b16_e32 v16, 11, v0
	v_mul_lo_u16_e32 v0, 56, v16
	v_sub_u16_e32 v0, v59, v0
	v_and_b32_e32 v17, 0xff, v0
	v_mul_u32_u24_e32 v0, 3, v17
	v_lshlrev_b32_e32 v8, 4, v0
	s_load_dwordx2 s[0:1], s[0:1], 0x8
	global_load_dwordx4 v[0:3], v8, s[4:5] offset:800
	global_load_dwordx4 v[4:7], v8, s[4:5] offset:784
	v_add_u32_e32 v9, 0xa8, v17
	v_mov_b32_e32 v61, 4
	v_mul_lo_u32 v9, v60, v9
	v_mov_b32_e32 v76, 0x1000
	v_add_u32_e32 v10, 0x70, v17
	v_add_u32_e32 v11, 56, v17
	global_load_dwordx4 v[18:21], v8, s[4:5] offset:816
	v_lshlrev_b32_sdwa v8, v61, v9 dst_sel:DWORD dst_unused:UNUSED_PAD src0_sel:DWORD src1_sel:BYTE_0
	v_bfe_u32 v9, v9, 8, 8
	v_mul_lo_u32 v10, v60, v10
	v_mul_lo_u32 v11, v60, v11
	v_lshl_or_b32 v9, v9, 4, v76
	s_waitcnt lgkmcnt(0)
	global_load_dwordx4 v[22:25], v8, s[0:1]
	global_load_dwordx4 v[26:29], v9, s[0:1]
	v_lshlrev_b32_sdwa v13, v61, v10 dst_sel:DWORD dst_unused:UNUSED_PAD src0_sel:DWORD src1_sel:BYTE_0
	v_bfe_u32 v10, v10, 8, 8
	v_bfe_u32 v9, v11, 8, 8
	v_lshlrev_b32_sdwa v8, v61, v11 dst_sel:DWORD dst_unused:UNUSED_PAD src0_sel:DWORD src1_sel:BYTE_0
	v_lshl_or_b32 v10, v10, 4, v76
	v_lshl_or_b32 v9, v9, 4, v76
	global_load_dwordx4 v[30:33], v13, s[0:1]
	global_load_dwordx4 v[34:37], v10, s[0:1]
	;; [unrolled: 1-line block ×4, first 2 shown]
	ds_read_b128 v[46:49], v12 offset:12096
	ds_read_b128 v[8:11], v12
	ds_read_b128 v[50:53], v12 offset:20160
	ds_read_b128 v[54:57], v12 offset:16128
	v_and_b32_e32 v77, 0xffff, v62
	ds_read_b128 v[62:65], v12 offset:28224
	ds_read_b128 v[66:69], v12 offset:24192
	v_add_u32_e32 v70, 0xfc0, v12
	v_add_u32_e32 v71, 0x1f80, v12
	;; [unrolled: 1-line block ×4, first 2 shown]
	s_movk_i32 s2, 0xa8
	v_mad_u32_u24 v16, v16, s2, v59
	s_waitcnt vmcnt(8) lgkmcnt(3)
	v_mul_f64 v[12:13], v[50:51], v[2:3]
	v_mul_f64 v[14:15], v[52:53], v[2:3]
	v_fma_f64 v[12:13], v[52:53], v[0:1], -v[12:13]
	v_fmac_f64_e32 v[14:15], v[50:51], v[0:1]
	s_waitcnt vmcnt(7)
	v_mul_f64 v[50:51], v[48:49], v[6:7]
	v_mul_f64 v[0:1], v[46:47], v[6:7]
	v_mul_lo_u32 v6, v60, v17
	v_fmac_f64_e32 v[50:51], v[46:47], v[4:5]
	v_fma_f64 v[4:5], v[48:49], v[4:5], -v[0:1]
	ds_read_b128 v[0:3], v70
	ds_read_b128 v[46:49], v71
	v_lshlrev_b32_sdwa v17, v61, v6 dst_sel:DWORD dst_unused:UNUSED_PAD src0_sel:DWORD src1_sel:BYTE_0
	v_bfe_u32 v6, v6, 8, 8
	v_mul_u32_u24_e32 v52, 3, v77
	v_lshl_or_b32 v70, v6, 4, v76
	s_waitcnt vmcnt(6) lgkmcnt(3)
	v_mul_f64 v[6:7], v[64:65], v[20:21]
	v_mul_f64 v[20:21], v[62:63], v[20:21]
	v_lshlrev_b32_e32 v74, 4, v52
	v_fmac_f64_e32 v[6:7], v[62:63], v[18:19]
	v_fma_f64 v[52:53], v[64:65], v[18:19], -v[20:21]
	s_waitcnt vmcnt(4)
	v_mul_f64 v[18:19], v[24:25], v[28:29]
	v_mul_f64 v[62:63], v[22:23], v[28:29]
	v_fma_f64 v[64:65], v[22:23], v[26:27], -v[18:19]
	v_fmac_f64_e32 v[62:63], v[24:25], v[26:27]
	s_waitcnt vmcnt(2)
	v_mul_f64 v[26:27], v[32:33], v[36:37]
	v_mul_f64 v[36:37], v[30:31], v[36:37]
	global_load_dwordx4 v[18:21], v17, s[0:1]
	global_load_dwordx4 v[22:25], v70, s[0:1]
	s_waitcnt vmcnt(2)
	v_mul_f64 v[28:29], v[40:41], v[44:45]
	v_fma_f64 v[70:71], v[30:31], v[34:35], -v[26:27]
	v_fmac_f64_e32 v[36:37], v[32:33], v[34:35]
	v_mul_f64 v[44:45], v[38:39], v[44:45]
	s_waitcnt lgkmcnt(1)
	v_add_f64 v[14:15], v[0:1], -v[14:15]
	v_add_f64 v[34:35], v[4:5], -v[52:53]
	v_fma_f64 v[38:39], v[38:39], v[42:43], -v[28:29]
	v_fmac_f64_e32 v[44:45], v[40:41], v[42:43]
	v_add_f64 v[12:13], v[2:3], -v[12:13]
	v_add_f64 v[6:7], v[50:51], -v[6:7]
	v_add_f64 v[42:43], v[14:15], v[34:35]
	v_add_f64 v[40:41], v[12:13], -v[6:7]
	v_fma_f64 v[52:53], v[2:3], 2.0, -v[12:13]
	v_fma_f64 v[2:3], v[4:5], 2.0, -v[34:35]
	v_mul_f64 v[4:5], v[42:43], v[62:63]
	v_fma_f64 v[72:73], v[0:1], 2.0, -v[14:15]
	v_mul_f64 v[0:1], v[40:41], v[62:63]
	v_add_f64 v[62:63], v[52:53], -v[2:3]
	v_fma_f64 v[2:3], v[40:41], v[64:65], -v[4:5]
	v_fma_f64 v[4:5], v[50:51], 2.0, -v[6:7]
	v_add_f64 v[50:51], v[72:73], -v[4:5]
	global_load_dwordx4 v[26:29], v74, s[4:5] offset:800
	global_load_dwordx4 v[30:33], v74, s[4:5] offset:784
	v_mul_f64 v[4:5], v[50:51], v[36:37]
	v_fma_f64 v[6:7], v[62:63], v[70:71], -v[4:5]
	v_mul_f64 v[4:5], v[62:63], v[36:37]
	global_load_dwordx4 v[34:37], v74, s[4:5] offset:816
	v_fma_f64 v[12:13], v[12:13], 2.0, -v[40:41]
	v_fma_f64 v[40:41], v[14:15], 2.0, -v[42:43]
	v_mul_f64 v[14:15], v[40:41], v[44:45]
	v_fma_f64 v[14:15], v[12:13], v[38:39], -v[14:15]
	v_mul_f64 v[12:13], v[12:13], v[44:45]
	v_fmac_f64_e32 v[12:13], v[40:41], v[38:39]
	v_add_u32_e32 v17, 0xa8, v77
	v_fmac_f64_e32 v[0:1], v[42:43], v[64:65]
	v_fmac_f64_e32 v[4:5], v[50:51], v[70:71]
	s_waitcnt vmcnt(3)
	v_mul_f64 v[38:39], v[20:21], v[24:25]
	v_fma_f64 v[64:65], v[18:19], v[22:23], -v[38:39]
	v_mul_f64 v[42:43], v[18:19], v[24:25]
	v_mul_lo_u32 v18, v60, v17
	v_lshlrev_b32_sdwa v38, v61, v18 dst_sel:DWORD dst_unused:UNUSED_PAD src0_sel:DWORD src1_sel:BYTE_0
	v_bfe_u32 v18, v18, 8, 8
	v_lshl_or_b32 v39, v18, 4, v76
	v_fmac_f64_e32 v[42:43], v[20:21], v[22:23]
	global_load_dwordx4 v[18:21], v38, s[0:1]
	global_load_dwordx4 v[22:25], v39, s[0:1]
	s_waitcnt vmcnt(4)
	v_mul_f64 v[38:39], v[54:55], v[28:29]
	v_fma_f64 v[70:71], v[56:57], v[26:27], -v[38:39]
	s_waitcnt vmcnt(3) lgkmcnt(0)
	v_mul_f64 v[74:75], v[48:49], v[32:33]
	v_mul_f64 v[56:57], v[56:57], v[28:29]
	v_fmac_f64_e32 v[74:75], v[46:47], v[30:31]
	v_fmac_f64_e32 v[56:57], v[54:55], v[26:27]
	v_mul_f64 v[26:27], v[46:47], v[32:33]
	v_fma_f64 v[46:47], v[52:53], 2.0, -v[62:63]
	s_waitcnt vmcnt(2)
	v_mul_f64 v[62:63], v[68:69], v[36:37]
	v_mul_f64 v[36:37], v[66:67], v[36:37]
	v_fma_f64 v[54:55], v[48:49], v[30:31], -v[26:27]
	v_mul_lo_u32 v26, v60, v78
	v_fmac_f64_e32 v[62:63], v[66:67], v[34:35]
	v_fma_f64 v[66:67], v[68:69], v[34:35], -v[36:37]
	v_mul_lo_u32 v34, v60, v79
	v_lshlrev_b32_sdwa v38, v61, v26 dst_sel:DWORD dst_unused:UNUSED_PAD src0_sel:DWORD src1_sel:BYTE_0
	v_bfe_u32 v26, v26, 8, 8
	v_lshlrev_b32_sdwa v44, v61, v34 dst_sel:DWORD dst_unused:UNUSED_PAD src0_sel:DWORD src1_sel:BYTE_0
	v_bfe_u32 v34, v34, 8, 8
	v_lshl_or_b32 v39, v26, 4, v76
	global_load_dwordx4 v[26:29], v38, s[0:1]
	global_load_dwordx4 v[30:33], v39, s[0:1]
	v_lshl_or_b32 v45, v34, 4, v76
	v_fma_f64 v[68:69], v[72:73], 2.0, -v[50:51]
	global_load_dwordx4 v[34:37], v44, s[0:1]
	global_load_dwordx4 v[38:41], v45, s[0:1]
	v_mul_f64 v[44:45], v[68:69], v[42:43]
	v_fma_f64 v[44:45], v[46:47], v[64:65], -v[44:45]
	v_mul_f64 v[42:43], v[46:47], v[42:43]
	v_mul_lo_u32 v46, v60, v77
	v_lshlrev_b32_sdwa v60, v61, v46 dst_sel:DWORD dst_unused:UNUSED_PAD src0_sel:DWORD src1_sel:BYTE_0
	v_bfe_u32 v46, v46, 8, 8
	v_lshl_or_b32 v61, v46, 4, v76
	global_load_dwordx4 v[46:49], v60, s[0:1]
	global_load_dwordx4 v[50:53], v61, s[0:1]
	v_fmac_f64_e32 v[42:43], v[68:69], v[64:65]
	v_add_f64 v[60:61], v[10:11], -v[70:71]
	v_add_f64 v[62:63], v[74:75], -v[62:63]
	s_waitcnt vmcnt(6)
	v_mul_f64 v[64:65], v[20:21], v[24:25]
	v_fma_f64 v[64:65], v[18:19], v[22:23], -v[64:65]
	v_mul_f64 v[18:19], v[18:19], v[24:25]
	v_add_f64 v[24:25], v[8:9], -v[56:57]
	v_add_f64 v[56:57], v[54:55], -v[66:67]
	v_fmac_f64_e32 v[18:19], v[20:21], v[22:23]
	v_add_f64 v[22:23], v[60:61], -v[62:63]
	v_add_f64 v[66:67], v[24:25], v[56:57]
	v_mul_f64 v[20:21], v[66:67], v[18:19]
	v_mul_f64 v[18:19], v[22:23], v[18:19]
	v_fma_f64 v[20:21], v[22:23], v[64:65], -v[20:21]
	v_fmac_f64_e32 v[18:19], v[66:67], v[64:65]
	v_fma_f64 v[64:65], v[10:11], 2.0, -v[60:61]
	v_fma_f64 v[10:11], v[54:55], 2.0, -v[56:57]
	;; [unrolled: 1-line block ×4, first 2 shown]
	v_add_f64 v[54:55], v[64:65], -v[10:11]
	v_add_f64 v[62:63], v[68:69], -v[8:9]
	v_fma_f64 v[22:23], v[60:61], 2.0, -v[22:23]
	s_waitcnt vmcnt(4)
	v_mul_f64 v[10:11], v[28:29], v[32:33]
	v_mul_f64 v[8:9], v[26:27], v[32:33]
	v_fma_f64 v[56:57], v[26:27], v[30:31], -v[10:11]
	v_fmac_f64_e32 v[8:9], v[28:29], v[30:31]
	s_waitcnt vmcnt(2)
	v_mul_f64 v[30:31], v[34:35], v[40:41]
	v_mul_f64 v[26:27], v[36:37], v[40:41]
	v_fma_f64 v[28:29], v[24:25], 2.0, -v[66:67]
	v_fmac_f64_e32 v[30:31], v[36:37], v[38:39]
	v_fma_f64 v[26:27], v[34:35], v[38:39], -v[26:27]
	v_mul_f64 v[24:25], v[28:29], v[30:31]
	v_fma_f64 v[24:25], v[22:23], v[26:27], -v[24:25]
	v_mul_f64 v[22:23], v[22:23], v[30:31]
	s_waitcnt vmcnt(0)
	v_mul_f64 v[34:35], v[46:47], v[52:53]
	v_fmac_f64_e32 v[22:23], v[28:29], v[26:27]
	v_mul_f64 v[28:29], v[48:49], v[52:53]
	v_fma_f64 v[32:33], v[68:69], 2.0, -v[62:63]
	v_fmac_f64_e32 v[34:35], v[48:49], v[50:51]
	v_fma_f64 v[26:27], v[64:65], 2.0, -v[54:55]
	v_fma_f64 v[30:31], v[46:47], v[50:51], -v[28:29]
	v_mul_f64 v[28:29], v[32:33], v[34:35]
	v_fma_f64 v[28:29], v[26:27], v[30:31], -v[28:29]
	v_mul_f64 v[26:27], v[26:27], v[34:35]
	v_fmac_f64_e32 v[26:27], v[32:33], v[30:31]
	v_mad_u64_u32 v[30:31], s[0:1], s8, v58, 0
	v_mov_b32_e32 v32, v31
	v_mad_u64_u32 v[32:33], s[0:1], s9, v58, v[32:33]
	v_mov_b32_e32 v31, v32
	;; [unrolled: 2-line block ×3, first 2 shown]
	v_mad_u64_u32 v[34:35], s[0:1], s13, v77, v[34:35]
	s_lshl_b64 s[0:1], s[6:7], 4
	s_add_u32 s0, s14, s0
	s_addc_u32 s1, s15, s1
	v_mov_b32_e32 v33, v34
	v_lshl_add_u64 v[30:31], v[30:31], 4, s[0:1]
	v_lshl_add_u64 v[32:33], v[32:33], 4, v[30:31]
	global_store_dwordx4 v[32:33], v[26:29], off
	v_mul_f64 v[10:11], v[62:63], v[8:9]
	v_mul_f64 v[8:9], v[54:55], v[8:9]
	v_mad_u64_u32 v[26:27], s[0:1], s12, v79, 0
	v_mov_b32_e32 v28, v27
	v_mad_u64_u32 v[28:29], s[0:1], s13, v79, v[28:29]
	v_mov_b32_e32 v27, v28
	v_lshl_add_u64 v[26:27], v[26:27], 4, v[30:31]
	global_store_dwordx4 v[26:27], v[22:25], off
	v_fma_f64 v[10:11], v[54:55], v[56:57], -v[10:11]
	v_fmac_f64_e32 v[8:9], v[62:63], v[56:57]
	v_mad_u64_u32 v[22:23], s[0:1], s12, v78, 0
	v_mov_b32_e32 v24, v23
	v_mad_u64_u32 v[24:25], s[0:1], s13, v78, v[24:25]
	v_mov_b32_e32 v23, v24
	v_lshl_add_u64 v[22:23], v[22:23], 4, v[30:31]
	global_store_dwordx4 v[22:23], v[8:11], off
	s_nop 1
	v_mad_u64_u32 v[8:9], s[0:1], s12, v17, 0
	v_mov_b32_e32 v10, v9
	v_mad_u64_u32 v[10:11], s[0:1], s13, v17, v[10:11]
	v_mov_b32_e32 v9, v10
	v_lshl_add_u64 v[8:9], v[8:9], 4, v[30:31]
	global_store_dwordx4 v[8:9], v[18:21], off
	v_mad_u64_u32 v[8:9], s[0:1], s12, v16, 0
	v_mov_b32_e32 v10, v9
	v_mad_u64_u32 v[10:11], s[0:1], s13, v16, v[10:11]
	v_mov_b32_e32 v9, v10
	v_lshl_add_u64 v[8:9], v[8:9], 4, v[30:31]
	v_add_u32_e32 v11, 56, v16
	global_store_dwordx4 v[8:9], v[42:45], off
	v_mad_u64_u32 v[8:9], s[0:1], s12, v11, 0
	v_mov_b32_e32 v10, v9
	v_mad_u64_u32 v[10:11], s[0:1], s13, v11, v[10:11]
	v_mov_b32_e32 v9, v10
	v_lshl_add_u64 v[8:9], v[8:9], 4, v[30:31]
	v_add_u32_e32 v11, 0x70, v16
	global_store_dwordx4 v[8:9], v[12:15], off
	v_mad_u64_u32 v[8:9], s[0:1], s12, v11, 0
	v_mov_b32_e32 v10, v9
	v_mad_u64_u32 v[10:11], s[0:1], s13, v11, v[10:11]
	v_mov_b32_e32 v9, v10
	v_lshl_add_u64 v[8:9], v[8:9], 4, v[30:31]
	global_store_dwordx4 v[8:9], v[4:7], off
	s_nop 1
	v_add_u32_e32 v7, 0xa8, v16
	v_mad_u64_u32 v[4:5], s[0:1], s12, v7, 0
	v_mov_b32_e32 v6, v5
	v_mad_u64_u32 v[6:7], s[0:1], s13, v7, v[6:7]
	v_mov_b32_e32 v5, v6
	v_lshl_add_u64 v[4:5], v[4:5], 4, v[30:31]
	global_store_dwordx4 v[4:5], v[0:3], off
.LBB0_14:
	s_endpgm
	.section	.rodata,"a",@progbits
	.p2align	6, 0x0
	.amdhsa_kernel fft_rtc_back_len224_factors_7_2_4_4_wgs_252_tpt_28_dim2_dp_ip_CI_sbcc_twdbase8_2step_dirReg
		.amdhsa_group_segment_fixed_size 0
		.amdhsa_private_segment_fixed_size 0
		.amdhsa_kernarg_size 88
		.amdhsa_user_sgpr_count 2
		.amdhsa_user_sgpr_dispatch_ptr 0
		.amdhsa_user_sgpr_queue_ptr 0
		.amdhsa_user_sgpr_kernarg_segment_ptr 1
		.amdhsa_user_sgpr_dispatch_id 0
		.amdhsa_user_sgpr_kernarg_preload_length 0
		.amdhsa_user_sgpr_kernarg_preload_offset 0
		.amdhsa_user_sgpr_private_segment_size 0
		.amdhsa_uses_dynamic_stack 0
		.amdhsa_enable_private_segment 0
		.amdhsa_system_sgpr_workgroup_id_x 1
		.amdhsa_system_sgpr_workgroup_id_y 0
		.amdhsa_system_sgpr_workgroup_id_z 0
		.amdhsa_system_sgpr_workgroup_info 0
		.amdhsa_system_vgpr_workitem_id 0
		.amdhsa_next_free_vgpr 84
		.amdhsa_next_free_sgpr 40
		.amdhsa_accum_offset 84
		.amdhsa_reserve_vcc 1
		.amdhsa_float_round_mode_32 0
		.amdhsa_float_round_mode_16_64 0
		.amdhsa_float_denorm_mode_32 3
		.amdhsa_float_denorm_mode_16_64 3
		.amdhsa_dx10_clamp 1
		.amdhsa_ieee_mode 1
		.amdhsa_fp16_overflow 0
		.amdhsa_tg_split 0
		.amdhsa_exception_fp_ieee_invalid_op 0
		.amdhsa_exception_fp_denorm_src 0
		.amdhsa_exception_fp_ieee_div_zero 0
		.amdhsa_exception_fp_ieee_overflow 0
		.amdhsa_exception_fp_ieee_underflow 0
		.amdhsa_exception_fp_ieee_inexact 0
		.amdhsa_exception_int_div_zero 0
	.end_amdhsa_kernel
	.text
.Lfunc_end0:
	.size	fft_rtc_back_len224_factors_7_2_4_4_wgs_252_tpt_28_dim2_dp_ip_CI_sbcc_twdbase8_2step_dirReg, .Lfunc_end0-fft_rtc_back_len224_factors_7_2_4_4_wgs_252_tpt_28_dim2_dp_ip_CI_sbcc_twdbase8_2step_dirReg
                                        ; -- End function
	.section	.AMDGPU.csdata,"",@progbits
; Kernel info:
; codeLenInByte = 6772
; NumSgprs: 46
; NumVgprs: 84
; NumAgprs: 0
; TotalNumVgprs: 84
; ScratchSize: 0
; MemoryBound: 1
; FloatMode: 240
; IeeeMode: 1
; LDSByteSize: 0 bytes/workgroup (compile time only)
; SGPRBlocks: 5
; VGPRBlocks: 10
; NumSGPRsForWavesPerEU: 46
; NumVGPRsForWavesPerEU: 84
; AccumOffset: 84
; Occupancy: 5
; WaveLimiterHint : 1
; COMPUTE_PGM_RSRC2:SCRATCH_EN: 0
; COMPUTE_PGM_RSRC2:USER_SGPR: 2
; COMPUTE_PGM_RSRC2:TRAP_HANDLER: 0
; COMPUTE_PGM_RSRC2:TGID_X_EN: 1
; COMPUTE_PGM_RSRC2:TGID_Y_EN: 0
; COMPUTE_PGM_RSRC2:TGID_Z_EN: 0
; COMPUTE_PGM_RSRC2:TIDIG_COMP_CNT: 0
; COMPUTE_PGM_RSRC3_GFX90A:ACCUM_OFFSET: 20
; COMPUTE_PGM_RSRC3_GFX90A:TG_SPLIT: 0
	.text
	.p2alignl 6, 3212836864
	.fill 256, 4, 3212836864
	.type	__hip_cuid_e8aa3c4c139a19f6,@object ; @__hip_cuid_e8aa3c4c139a19f6
	.section	.bss,"aw",@nobits
	.globl	__hip_cuid_e8aa3c4c139a19f6
__hip_cuid_e8aa3c4c139a19f6:
	.byte	0                               ; 0x0
	.size	__hip_cuid_e8aa3c4c139a19f6, 1

	.ident	"AMD clang version 19.0.0git (https://github.com/RadeonOpenCompute/llvm-project roc-6.4.0 25133 c7fe45cf4b819c5991fe208aaa96edf142730f1d)"
	.section	".note.GNU-stack","",@progbits
	.addrsig
	.addrsig_sym __hip_cuid_e8aa3c4c139a19f6
	.amdgpu_metadata
---
amdhsa.kernels:
  - .agpr_count:     0
    .args:
      - .actual_access:  read_only
        .address_space:  global
        .offset:         0
        .size:           8
        .value_kind:     global_buffer
      - .address_space:  global
        .offset:         8
        .size:           8
        .value_kind:     global_buffer
      - .actual_access:  read_only
        .address_space:  global
        .offset:         16
        .size:           8
        .value_kind:     global_buffer
      - .actual_access:  read_only
        .address_space:  global
        .offset:         24
        .size:           8
        .value_kind:     global_buffer
      - .offset:         32
        .size:           8
        .value_kind:     by_value
      - .actual_access:  read_only
        .address_space:  global
        .offset:         40
        .size:           8
        .value_kind:     global_buffer
      - .actual_access:  read_only
        .address_space:  global
        .offset:         48
        .size:           8
        .value_kind:     global_buffer
      - .offset:         56
        .size:           4
        .value_kind:     by_value
      - .actual_access:  read_only
        .address_space:  global
        .offset:         64
        .size:           8
        .value_kind:     global_buffer
      - .actual_access:  read_only
        .address_space:  global
        .offset:         72
        .size:           8
        .value_kind:     global_buffer
      - .address_space:  global
        .offset:         80
        .size:           8
        .value_kind:     global_buffer
    .group_segment_fixed_size: 0
    .kernarg_segment_align: 8
    .kernarg_segment_size: 88
    .language:       OpenCL C
    .language_version:
      - 2
      - 0
    .max_flat_workgroup_size: 252
    .name:           fft_rtc_back_len224_factors_7_2_4_4_wgs_252_tpt_28_dim2_dp_ip_CI_sbcc_twdbase8_2step_dirReg
    .private_segment_fixed_size: 0
    .sgpr_count:     46
    .sgpr_spill_count: 0
    .symbol:         fft_rtc_back_len224_factors_7_2_4_4_wgs_252_tpt_28_dim2_dp_ip_CI_sbcc_twdbase8_2step_dirReg.kd
    .uniform_work_group_size: 1
    .uses_dynamic_stack: false
    .vgpr_count:     84
    .vgpr_spill_count: 0
    .wavefront_size: 64
amdhsa.target:   amdgcn-amd-amdhsa--gfx950
amdhsa.version:
  - 1
  - 2
...

	.end_amdgpu_metadata
